;; amdgpu-corpus repo=ROCm/rocFFT kind=compiled arch=gfx906 opt=O3
	.text
	.amdgcn_target "amdgcn-amd-amdhsa--gfx906"
	.amdhsa_code_object_version 6
	.protected	fft_rtc_back_len2592_factors_6_6_6_6_2_wgs_216_tpt_216_halfLds_dp_ip_CI_sbrr_dirReg ; -- Begin function fft_rtc_back_len2592_factors_6_6_6_6_2_wgs_216_tpt_216_halfLds_dp_ip_CI_sbrr_dirReg
	.globl	fft_rtc_back_len2592_factors_6_6_6_6_2_wgs_216_tpt_216_halfLds_dp_ip_CI_sbrr_dirReg
	.p2align	8
	.type	fft_rtc_back_len2592_factors_6_6_6_6_2_wgs_216_tpt_216_halfLds_dp_ip_CI_sbrr_dirReg,@function
fft_rtc_back_len2592_factors_6_6_6_6_2_wgs_216_tpt_216_halfLds_dp_ip_CI_sbrr_dirReg: ; @fft_rtc_back_len2592_factors_6_6_6_6_2_wgs_216_tpt_216_halfLds_dp_ip_CI_sbrr_dirReg
; %bb.0:
	s_load_dwordx2 s[14:15], s[4:5], 0x18
	s_load_dwordx4 s[8:11], s[4:5], 0x0
	s_load_dwordx2 s[12:13], s[4:5], 0x50
	v_mul_u32_u24_e32 v1, 0x130, v0
	v_add_u32_sdwa v5, s6, v1 dst_sel:DWORD dst_unused:UNUSED_PAD src0_sel:DWORD src1_sel:WORD_1
	s_waitcnt lgkmcnt(0)
	s_load_dwordx2 s[2:3], s[14:15], 0x0
	v_cmp_lt_u64_e64 s[0:1], s[10:11], 2
	v_mov_b32_e32 v3, 0
	v_mov_b32_e32 v1, 0
	;; [unrolled: 1-line block ×3, first 2 shown]
	s_and_b64 vcc, exec, s[0:1]
	v_mov_b32_e32 v2, 0
	s_cbranch_vccnz .LBB0_8
; %bb.1:
	s_load_dwordx2 s[0:1], s[4:5], 0x10
	s_add_u32 s6, s14, 8
	s_addc_u32 s7, s15, 0
	v_mov_b32_e32 v1, 0
	v_mov_b32_e32 v2, 0
	s_waitcnt lgkmcnt(0)
	s_add_u32 s16, s0, 8
	s_addc_u32 s17, s1, 0
	s_mov_b64 s[18:19], 1
.LBB0_2:                                ; =>This Inner Loop Header: Depth=1
	s_load_dwordx2 s[20:21], s[16:17], 0x0
                                        ; implicit-def: $vgpr7_vgpr8
	s_waitcnt lgkmcnt(0)
	v_or_b32_e32 v4, s21, v6
	v_cmp_ne_u64_e32 vcc, 0, v[3:4]
	s_and_saveexec_b64 s[0:1], vcc
	s_xor_b64 s[22:23], exec, s[0:1]
	s_cbranch_execz .LBB0_4
; %bb.3:                                ;   in Loop: Header=BB0_2 Depth=1
	v_cvt_f32_u32_e32 v4, s20
	v_cvt_f32_u32_e32 v7, s21
	s_sub_u32 s0, 0, s20
	s_subb_u32 s1, 0, s21
	v_mac_f32_e32 v4, 0x4f800000, v7
	v_rcp_f32_e32 v4, v4
	v_mul_f32_e32 v4, 0x5f7ffffc, v4
	v_mul_f32_e32 v7, 0x2f800000, v4
	v_trunc_f32_e32 v7, v7
	v_mac_f32_e32 v4, 0xcf800000, v7
	v_cvt_u32_f32_e32 v7, v7
	v_cvt_u32_f32_e32 v4, v4
	v_mul_lo_u32 v8, s0, v7
	v_mul_hi_u32 v9, s0, v4
	v_mul_lo_u32 v11, s1, v4
	v_mul_lo_u32 v10, s0, v4
	v_add_u32_e32 v8, v9, v8
	v_add_u32_e32 v8, v8, v11
	v_mul_hi_u32 v9, v4, v10
	v_mul_lo_u32 v11, v4, v8
	v_mul_hi_u32 v13, v4, v8
	v_mul_hi_u32 v12, v7, v10
	v_mul_lo_u32 v10, v7, v10
	v_mul_hi_u32 v14, v7, v8
	v_add_co_u32_e32 v9, vcc, v9, v11
	v_addc_co_u32_e32 v11, vcc, 0, v13, vcc
	v_mul_lo_u32 v8, v7, v8
	v_add_co_u32_e32 v9, vcc, v9, v10
	v_addc_co_u32_e32 v9, vcc, v11, v12, vcc
	v_addc_co_u32_e32 v10, vcc, 0, v14, vcc
	v_add_co_u32_e32 v8, vcc, v9, v8
	v_addc_co_u32_e32 v9, vcc, 0, v10, vcc
	v_add_co_u32_e32 v4, vcc, v4, v8
	v_addc_co_u32_e32 v7, vcc, v7, v9, vcc
	v_mul_lo_u32 v8, s0, v7
	v_mul_hi_u32 v9, s0, v4
	v_mul_lo_u32 v10, s1, v4
	v_mul_lo_u32 v11, s0, v4
	v_add_u32_e32 v8, v9, v8
	v_add_u32_e32 v8, v8, v10
	v_mul_lo_u32 v12, v4, v8
	v_mul_hi_u32 v13, v4, v11
	v_mul_hi_u32 v14, v4, v8
	;; [unrolled: 1-line block ×3, first 2 shown]
	v_mul_lo_u32 v11, v7, v11
	v_mul_hi_u32 v9, v7, v8
	v_add_co_u32_e32 v12, vcc, v13, v12
	v_addc_co_u32_e32 v13, vcc, 0, v14, vcc
	v_mul_lo_u32 v8, v7, v8
	v_add_co_u32_e32 v11, vcc, v12, v11
	v_addc_co_u32_e32 v10, vcc, v13, v10, vcc
	v_addc_co_u32_e32 v9, vcc, 0, v9, vcc
	v_add_co_u32_e32 v8, vcc, v10, v8
	v_addc_co_u32_e32 v9, vcc, 0, v9, vcc
	v_add_co_u32_e32 v4, vcc, v4, v8
	v_addc_co_u32_e32 v9, vcc, v7, v9, vcc
	v_mad_u64_u32 v[7:8], s[0:1], v5, v9, 0
	v_mul_hi_u32 v10, v5, v4
	v_add_co_u32_e32 v11, vcc, v10, v7
	v_addc_co_u32_e32 v12, vcc, 0, v8, vcc
	v_mad_u64_u32 v[7:8], s[0:1], v6, v4, 0
	v_mad_u64_u32 v[9:10], s[0:1], v6, v9, 0
	v_add_co_u32_e32 v4, vcc, v11, v7
	v_addc_co_u32_e32 v4, vcc, v12, v8, vcc
	v_addc_co_u32_e32 v7, vcc, 0, v10, vcc
	v_add_co_u32_e32 v4, vcc, v4, v9
	v_addc_co_u32_e32 v9, vcc, 0, v7, vcc
	v_mul_lo_u32 v10, s21, v4
	v_mul_lo_u32 v11, s20, v9
	v_mad_u64_u32 v[7:8], s[0:1], s20, v4, 0
	v_add3_u32 v8, v8, v11, v10
	v_sub_u32_e32 v10, v6, v8
	v_mov_b32_e32 v11, s21
	v_sub_co_u32_e32 v7, vcc, v5, v7
	v_subb_co_u32_e64 v10, s[0:1], v10, v11, vcc
	v_subrev_co_u32_e64 v11, s[0:1], s20, v7
	v_subbrev_co_u32_e64 v10, s[0:1], 0, v10, s[0:1]
	v_cmp_le_u32_e64 s[0:1], s21, v10
	v_cndmask_b32_e64 v12, 0, -1, s[0:1]
	v_cmp_le_u32_e64 s[0:1], s20, v11
	v_cndmask_b32_e64 v11, 0, -1, s[0:1]
	v_cmp_eq_u32_e64 s[0:1], s21, v10
	v_cndmask_b32_e64 v10, v12, v11, s[0:1]
	v_add_co_u32_e64 v11, s[0:1], 2, v4
	v_addc_co_u32_e64 v12, s[0:1], 0, v9, s[0:1]
	v_add_co_u32_e64 v13, s[0:1], 1, v4
	v_addc_co_u32_e64 v14, s[0:1], 0, v9, s[0:1]
	v_subb_co_u32_e32 v8, vcc, v6, v8, vcc
	v_cmp_ne_u32_e64 s[0:1], 0, v10
	v_cmp_le_u32_e32 vcc, s21, v8
	v_cndmask_b32_e64 v10, v14, v12, s[0:1]
	v_cndmask_b32_e64 v12, 0, -1, vcc
	v_cmp_le_u32_e32 vcc, s20, v7
	v_cndmask_b32_e64 v7, 0, -1, vcc
	v_cmp_eq_u32_e32 vcc, s21, v8
	v_cndmask_b32_e32 v7, v12, v7, vcc
	v_cmp_ne_u32_e32 vcc, 0, v7
	v_cndmask_b32_e64 v7, v13, v11, s[0:1]
	v_cndmask_b32_e32 v8, v9, v10, vcc
	v_cndmask_b32_e32 v7, v4, v7, vcc
.LBB0_4:                                ;   in Loop: Header=BB0_2 Depth=1
	s_andn2_saveexec_b64 s[0:1], s[22:23]
	s_cbranch_execz .LBB0_6
; %bb.5:                                ;   in Loop: Header=BB0_2 Depth=1
	v_cvt_f32_u32_e32 v4, s20
	s_sub_i32 s22, 0, s20
	v_rcp_iflag_f32_e32 v4, v4
	v_mul_f32_e32 v4, 0x4f7ffffe, v4
	v_cvt_u32_f32_e32 v4, v4
	v_mul_lo_u32 v7, s22, v4
	v_mul_hi_u32 v7, v4, v7
	v_add_u32_e32 v4, v4, v7
	v_mul_hi_u32 v4, v5, v4
	v_mul_lo_u32 v7, v4, s20
	v_add_u32_e32 v8, 1, v4
	v_sub_u32_e32 v7, v5, v7
	v_subrev_u32_e32 v9, s20, v7
	v_cmp_le_u32_e32 vcc, s20, v7
	v_cndmask_b32_e32 v7, v7, v9, vcc
	v_cndmask_b32_e32 v4, v4, v8, vcc
	v_add_u32_e32 v8, 1, v4
	v_cmp_le_u32_e32 vcc, s20, v7
	v_cndmask_b32_e32 v7, v4, v8, vcc
	v_mov_b32_e32 v8, v3
.LBB0_6:                                ;   in Loop: Header=BB0_2 Depth=1
	s_or_b64 exec, exec, s[0:1]
	v_mul_lo_u32 v4, v8, s20
	v_mul_lo_u32 v11, v7, s21
	v_mad_u64_u32 v[9:10], s[0:1], v7, s20, 0
	s_load_dwordx2 s[0:1], s[6:7], 0x0
	s_add_u32 s18, s18, 1
	v_add3_u32 v4, v10, v11, v4
	v_sub_co_u32_e32 v5, vcc, v5, v9
	v_subb_co_u32_e32 v4, vcc, v6, v4, vcc
	s_waitcnt lgkmcnt(0)
	v_mul_lo_u32 v4, s0, v4
	v_mul_lo_u32 v6, s1, v5
	v_mad_u64_u32 v[1:2], s[0:1], s0, v5, v[1:2]
	s_addc_u32 s19, s19, 0
	s_add_u32 s6, s6, 8
	v_add3_u32 v2, v6, v2, v4
	v_mov_b32_e32 v4, s10
	v_mov_b32_e32 v5, s11
	s_addc_u32 s7, s7, 0
	v_cmp_ge_u64_e32 vcc, s[18:19], v[4:5]
	s_add_u32 s16, s16, 8
	s_addc_u32 s17, s17, 0
	s_cbranch_vccnz .LBB0_9
; %bb.7:                                ;   in Loop: Header=BB0_2 Depth=1
	v_mov_b32_e32 v5, v7
	v_mov_b32_e32 v6, v8
	s_branch .LBB0_2
.LBB0_8:
	v_mov_b32_e32 v8, v6
	v_mov_b32_e32 v7, v5
.LBB0_9:
	s_lshl_b64 s[0:1], s[10:11], 3
	s_add_u32 s0, s14, s0
	s_addc_u32 s1, s15, s1
	s_load_dwordx2 s[6:7], s[0:1], 0x0
	s_load_dwordx2 s[10:11], s[4:5], 0x20
                                        ; implicit-def: $vgpr54
                                        ; implicit-def: $vgpr52
                                        ; implicit-def: $vgpr55
                                        ; implicit-def: $vgpr58
                                        ; implicit-def: $vgpr56
	s_waitcnt lgkmcnt(0)
	v_mad_u64_u32 v[1:2], s[0:1], s6, v7, v[1:2]
	s_mov_b32 s0, 0x12f684c
	v_mul_lo_u32 v3, s6, v8
	v_mul_lo_u32 v4, s7, v7
	v_mul_hi_u32 v5, v0, s0
	v_cmp_gt_u64_e32 vcc, s[10:11], v[7:8]
	v_cmp_le_u64_e64 s[0:1], s[10:11], v[7:8]
	v_add3_u32 v2, v4, v2, v3
	v_mul_u32_u24_e32 v3, 0xd8, v5
	v_sub_u32_e32 v48, v0, v3
	s_and_saveexec_b64 s[4:5], s[0:1]
	s_xor_b64 s[0:1], exec, s[4:5]
; %bb.10:
	v_add_u32_e32 v54, 0xd8, v48
	v_add_u32_e32 v52, 0x1b0, v48
	;; [unrolled: 1-line block ×5, first 2 shown]
; %bb.11:
	s_or_saveexec_b64 s[4:5], s[0:1]
	v_lshlrev_b64 v[50:51], 4, v[1:2]
                                        ; implicit-def: $vgpr6_vgpr7
                                        ; implicit-def: $vgpr2_vgpr3
                                        ; implicit-def: $vgpr22_vgpr23
                                        ; implicit-def: $vgpr14_vgpr15
                                        ; implicit-def: $vgpr18_vgpr19
                                        ; implicit-def: $vgpr10_vgpr11
                                        ; implicit-def: $vgpr26_vgpr27
                                        ; implicit-def: $vgpr34_vgpr35
                                        ; implicit-def: $vgpr42_vgpr43
                                        ; implicit-def: $vgpr46_vgpr47
                                        ; implicit-def: $vgpr38_vgpr39
                                        ; implicit-def: $vgpr30_vgpr31
	s_xor_b64 exec, exec, s[4:5]
	s_cbranch_execz .LBB0_13
; %bb.12:
	v_mad_u64_u32 v[0:1], s[0:1], s2, v48, 0
	v_add_u32_e32 v52, 0x1b0, v48
	v_mov_b32_e32 v4, s13
	v_mad_u64_u32 v[1:2], s[0:1], s3, v48, v[1:2]
	v_mad_u64_u32 v[2:3], s[0:1], s2, v52, 0
	v_add_co_u32_e64 v8, s[0:1], s12, v50
	v_addc_co_u32_e64 v9, s[0:1], v4, v51, s[0:1]
	v_mad_u64_u32 v[3:4], s[0:1], s3, v52, v[3:4]
	v_add_u32_e32 v55, 0x360, v48
	v_mad_u64_u32 v[4:5], s[0:1], s2, v55, 0
	v_lshlrev_b64 v[0:1], 4, v[0:1]
	v_add_u32_e32 v54, 0xd8, v48
	v_add_co_u32_e64 v59, s[0:1], v8, v0
	v_addc_co_u32_e64 v60, s[0:1], v9, v1, s[0:1]
	v_lshlrev_b64 v[0:1], 4, v[2:3]
	v_mov_b32_e32 v2, v5
	v_mad_u64_u32 v[2:3], s[0:1], s3, v55, v[2:3]
	v_add_u32_e32 v3, 0x510, v48
	v_mad_u64_u32 v[6:7], s[0:1], s2, v3, 0
	v_add_co_u32_e64 v61, s[0:1], v8, v0
	v_mov_b32_e32 v5, v2
	v_mov_b32_e32 v2, v7
	v_addc_co_u32_e64 v62, s[0:1], v9, v1, s[0:1]
	v_lshlrev_b64 v[0:1], 4, v[4:5]
	v_mad_u64_u32 v[2:3], s[0:1], s3, v3, v[2:3]
	v_add_u32_e32 v5, 0x6c0, v48
	v_mad_u64_u32 v[3:4], s[0:1], s2, v5, 0
	v_add_co_u32_e64 v63, s[0:1], v8, v0
	v_mov_b32_e32 v7, v2
	v_mov_b32_e32 v2, v4
	v_addc_co_u32_e64 v64, s[0:1], v9, v1, s[0:1]
	v_lshlrev_b64 v[0:1], 4, v[6:7]
	v_mad_u64_u32 v[4:5], s[0:1], s3, v5, v[2:3]
	v_add_u32_e32 v7, 0x870, v48
	v_mad_u64_u32 v[5:6], s[0:1], s2, v7, 0
	v_add_co_u32_e64 v65, s[0:1], v8, v0
	v_mov_b32_e32 v2, v6
	v_addc_co_u32_e64 v66, s[0:1], v9, v1, s[0:1]
	v_lshlrev_b64 v[0:1], 4, v[3:4]
	v_mad_u64_u32 v[2:3], s[0:1], s3, v7, v[2:3]
	v_mad_u64_u32 v[3:4], s[0:1], s2, v54, 0
	v_add_co_u32_e64 v67, s[0:1], v8, v0
	v_mov_b32_e32 v6, v2
	v_mov_b32_e32 v2, v4
	v_addc_co_u32_e64 v68, s[0:1], v9, v1, s[0:1]
	v_lshlrev_b64 v[0:1], 4, v[5:6]
	v_mad_u64_u32 v[4:5], s[0:1], s3, v54, v[2:3]
	v_add_u32_e32 v58, 0x288, v48
	v_mad_u64_u32 v[5:6], s[0:1], s2, v58, 0
	v_add_co_u32_e64 v69, s[0:1], v8, v0
	v_mov_b32_e32 v2, v6
	v_addc_co_u32_e64 v70, s[0:1], v9, v1, s[0:1]
	v_lshlrev_b64 v[0:1], 4, v[3:4]
	v_mad_u64_u32 v[2:3], s[0:1], s3, v58, v[2:3]
	v_add_u32_e32 v56, 0x438, v48
	v_mad_u64_u32 v[3:4], s[0:1], s2, v56, 0
	v_add_co_u32_e64 v71, s[0:1], v8, v0
	v_mov_b32_e32 v6, v2
	v_mov_b32_e32 v2, v4
	v_addc_co_u32_e64 v72, s[0:1], v9, v1, s[0:1]
	v_lshlrev_b64 v[0:1], 4, v[5:6]
	v_mad_u64_u32 v[4:5], s[0:1], s3, v56, v[2:3]
	v_add_u32_e32 v7, 0x5e8, v48
	v_mad_u64_u32 v[5:6], s[0:1], s2, v7, 0
	v_add_co_u32_e64 v73, s[0:1], v8, v0
	v_mov_b32_e32 v2, v6
	v_addc_co_u32_e64 v74, s[0:1], v9, v1, s[0:1]
	v_lshlrev_b64 v[0:1], 4, v[3:4]
	v_mad_u64_u32 v[2:3], s[0:1], s3, v7, v[2:3]
	v_add_u32_e32 v7, 0x798, v48
	v_mad_u64_u32 v[3:4], s[0:1], s2, v7, 0
	v_add_co_u32_e64 v75, s[0:1], v8, v0
	v_mov_b32_e32 v6, v2
	v_mov_b32_e32 v2, v4
	v_addc_co_u32_e64 v76, s[0:1], v9, v1, s[0:1]
	v_lshlrev_b64 v[0:1], 4, v[5:6]
	v_mad_u64_u32 v[4:5], s[0:1], s3, v7, v[2:3]
	v_add_u32_e32 v7, 0x948, v48
	v_mad_u64_u32 v[5:6], s[0:1], s2, v7, 0
	v_add_co_u32_e64 v77, s[0:1], v8, v0
	v_mov_b32_e32 v2, v6
	v_addc_co_u32_e64 v78, s[0:1], v9, v1, s[0:1]
	v_lshlrev_b64 v[0:1], 4, v[3:4]
	v_mad_u64_u32 v[2:3], s[0:1], s3, v7, v[2:3]
	v_add_co_u32_e64 v79, s[0:1], v8, v0
	v_mov_b32_e32 v6, v2
	v_addc_co_u32_e64 v80, s[0:1], v9, v1, s[0:1]
	v_lshlrev_b64 v[0:1], 4, v[5:6]
	v_add_co_u32_e64 v81, s[0:1], v8, v0
	v_addc_co_u32_e64 v82, s[0:1], v9, v1, s[0:1]
	global_load_dwordx4 v[28:31], v[59:60], off
	global_load_dwordx4 v[36:39], v[61:62], off
	global_load_dwordx4 v[44:47], v[63:64], off
	global_load_dwordx4 v[40:43], v[65:66], off
	global_load_dwordx4 v[32:35], v[67:68], off
	global_load_dwordx4 v[24:27], v[69:70], off
	global_load_dwordx4 v[8:11], v[71:72], off
	global_load_dwordx4 v[16:19], v[73:74], off
	global_load_dwordx4 v[12:15], v[75:76], off
	global_load_dwordx4 v[20:23], v[77:78], off
	global_load_dwordx4 v[0:3], v[79:80], off
	global_load_dwordx4 v[4:7], v[81:82], off
.LBB0_13:
	s_or_b64 exec, exec, s[4:5]
	s_waitcnt vmcnt(6)
	v_add_f64 v[59:60], v[26:27], v[42:43]
	v_add_f64 v[69:70], v[24:25], v[40:41]
	v_add_f64 v[71:72], v[40:41], -v[24:25]
	s_mov_b32 s4, 0xe8584caa
	s_mov_b32 s5, 0xbfebb67a
	;; [unrolled: 1-line block ×4, first 2 shown]
	v_add_f64 v[65:66], v[32:33], v[44:45]
	v_fma_f64 v[59:60], v[59:60], -0.5, v[38:39]
	v_add_f64 v[73:74], v[42:43], -v[26:27]
	v_fma_f64 v[69:70], v[69:70], -0.5, v[36:37]
	v_add_f64 v[61:62], v[44:45], v[28:29]
	v_add_f64 v[63:64], v[46:47], v[30:31]
	;; [unrolled: 1-line block ×3, first 2 shown]
	v_add_f64 v[46:47], v[46:47], -v[34:35]
	v_add_f64 v[36:37], v[40:41], v[36:37]
	v_fma_f64 v[75:76], v[71:72], s[0:1], v[59:60]
	v_fma_f64 v[59:60], v[71:72], s[4:5], v[59:60]
	v_fma_f64 v[28:29], v[65:66], -0.5, v[28:29]
	v_fma_f64 v[40:41], v[73:74], s[4:5], v[69:70]
	v_add_f64 v[38:39], v[42:43], v[38:39]
	v_fma_f64 v[42:43], v[73:74], s[0:1], v[69:70]
	v_add_f64 v[44:45], v[44:45], -v[32:33]
	v_add_f64 v[32:33], v[32:33], v[61:62]
	v_mul_f64 v[65:66], v[75:76], s[4:5]
	v_mul_f64 v[69:70], v[59:60], s[4:5]
	v_add_f64 v[36:37], v[24:25], v[36:37]
	v_add_f64 v[61:62], v[34:35], v[63:64]
	v_fma_f64 v[34:35], v[46:47], s[4:5], v[28:29]
	v_fma_f64 v[67:68], v[67:68], -0.5, v[30:31]
	s_waitcnt vmcnt(0)
	v_add_f64 v[71:72], v[6:7], v[22:23]
	v_fma_f64 v[46:47], v[46:47], s[0:1], v[28:29]
	v_fma_f64 v[63:64], v[40:41], 0.5, v[65:66]
	v_fma_f64 v[65:66], v[42:43], -0.5, v[69:70]
	v_add_f64 v[69:70], v[26:27], v[38:39]
	v_add_f64 v[24:25], v[36:37], v[32:33]
	v_add_f64 v[30:31], v[32:33], -v[36:37]
	v_mul_f64 v[36:37], v[40:41], s[0:1]
	v_mul_f64 v[38:39], v[59:60], -0.5
	v_add_f64 v[40:41], v[4:5], v[20:21]
	v_add_f64 v[26:27], v[34:35], v[63:64]
	v_add_f64 v[32:33], v[34:35], -v[63:64]
	v_fma_f64 v[63:64], v[44:45], s[0:1], v[67:68]
	v_fma_f64 v[44:45], v[44:45], s[4:5], v[67:68]
	v_add_f64 v[67:68], v[0:1], v[12:13]
	v_add_f64 v[28:29], v[46:47], v[65:66]
	v_add_f64 v[34:35], v[46:47], -v[65:66]
	v_fma_f64 v[46:47], v[71:72], -0.5, v[18:19]
	v_add_f64 v[59:60], v[20:21], -v[4:5]
	v_fma_f64 v[42:43], v[42:43], s[0:1], v[38:39]
	v_fma_f64 v[38:39], v[40:41], -0.5, v[16:17]
	v_add_f64 v[16:17], v[20:21], v[16:17]
	v_fma_f64 v[20:21], v[67:68], -0.5, v[8:9]
	v_add_f64 v[8:9], v[12:13], v[8:9]
	v_add_f64 v[40:41], v[22:23], -v[6:7]
	v_fma_f64 v[65:66], v[75:76], 0.5, v[36:37]
	v_fma_f64 v[71:72], v[59:60], s[0:1], v[46:47]
	v_fma_f64 v[73:74], v[59:60], s[4:5], v[46:47]
	v_add_f64 v[46:47], v[14:15], -v[2:3]
	v_add_f64 v[4:5], v[4:5], v[16:17]
	v_add_f64 v[36:37], v[69:70], v[61:62]
	;; [unrolled: 1-line block ×3, first 2 shown]
	v_fma_f64 v[67:68], v[40:41], s[4:5], v[38:39]
	v_fma_f64 v[75:76], v[40:41], s[0:1], v[38:39]
	v_mul_f64 v[59:60], v[71:72], s[4:5]
	v_mul_f64 v[40:41], v[73:74], s[4:5]
	v_add_f64 v[22:23], v[22:23], v[18:19]
	v_fma_f64 v[77:78], v[46:47], s[4:5], v[20:21]
	v_fma_f64 v[79:80], v[46:47], s[0:1], v[20:21]
	v_add_f64 v[20:21], v[61:62], -v[69:70]
	v_add_f64 v[18:19], v[44:45], v[42:43]
	v_add_f64 v[42:43], v[44:45], -v[42:43]
	v_add_f64 v[44:45], v[4:5], v[8:9]
	v_add_f64 v[61:62], v[8:9], -v[4:5]
	v_mul_u32_u24_e32 v4, 6, v48
	v_lshl_add_u32 v49, v4, 3, 0
	v_fma_f64 v[16:17], v[67:68], 0.5, v[59:60]
	ds_write_b128 v49, v[24:27]
	ds_write_b128 v49, v[28:31] offset:16
	ds_write_b128 v49, v[32:35] offset:32
	v_add_f64 v[28:29], v[2:3], v[14:15]
	v_fma_f64 v[81:82], v[75:76], -0.5, v[40:41]
	v_add_f64 v[14:15], v[14:15], v[10:11]
	v_add_f64 v[0:1], v[12:13], -v[0:1]
	v_mul_f64 v[12:13], v[67:68], s[0:1]
	v_add_f64 v[38:39], v[63:64], v[65:66]
	v_add_f64 v[46:47], v[77:78], v[16:17]
	v_add_f64 v[40:41], v[63:64], -v[65:66]
	v_fma_f64 v[10:11], v[28:29], -0.5, v[10:11]
	v_add_f64 v[59:60], v[79:80], v[81:82]
	v_mul_f64 v[28:29], v[73:74], -0.5
	v_add_f64 v[63:64], v[77:78], -v[16:17]
	v_add_f64 v[65:66], v[79:80], -v[81:82]
	v_mul_i32_i24_e32 v4, 6, v54
	v_lshl_add_u32 v24, v4, 3, 0
	ds_write_b128 v24, v[44:47]
	ds_write_b128 v24, v[59:62] offset:16
	ds_write_b128 v24, v[63:66] offset:32
	v_add_f64 v[14:15], v[2:3], v[14:15]
	v_add_f64 v[6:7], v[6:7], v[22:23]
	v_fma_f64 v[22:23], v[71:72], 0.5, v[12:13]
	v_fma_f64 v[59:60], v[0:1], s[0:1], v[10:11]
	v_fma_f64 v[61:62], v[0:1], s[4:5], v[10:11]
	;; [unrolled: 1-line block ×3, first 2 shown]
	s_movk_i32 s6, 0xffd8
	v_mad_i32_i24 v25, v48, s6, v49
	v_lshl_add_u32 v26, v52, 3, 0
	v_add_f64 v[0:1], v[6:7], v[14:15]
	v_add_f64 v[46:47], v[14:15], -v[6:7]
	v_add_f64 v[2:3], v[59:60], v[22:23]
	v_add_f64 v[59:60], v[59:60], -v[22:23]
	;; [unrolled: 2-line block ×3, first 2 shown]
	v_lshl_add_u32 v27, v55, 3, 0
	v_add_u32_e32 v16, 0x2100, v25
	v_mad_i32_i24 v8, v54, s6, v24
	s_movk_i32 s6, 0xab
	s_waitcnt lgkmcnt(0)
	s_barrier
	v_add_u32_e32 v9, 0x2f00, v25
	v_add_u32_e32 v17, 0x3c00, v25
	ds_read_b64 v[87:88], v27
	ds_read_b64 v[4:5], v8
	;; [unrolled: 1-line block ×3, first 2 shown]
	ds_read_b64 v[91:92], v25 offset:5184
	ds_read_b64 v[93:94], v26
	ds_read_b64 v[95:96], v25 offset:19008
	ds_read2_b64 v[10:13], v16 offset0:24 offset1:240
	ds_read2_b64 v[28:31], v9 offset0:8 offset1:224
	;; [unrolled: 1-line block ×3, first 2 shown]
	s_waitcnt lgkmcnt(0)
	s_barrier
	ds_write_b128 v49, v[36:39]
	ds_write_b128 v49, v[18:21] offset:16
	ds_write_b128 v49, v[40:43] offset:32
	ds_write_b128 v24, v[0:3]
	ds_write_b128 v24, v[44:47] offset:16
	ds_write_b128 v24, v[59:62] offset:32
	v_mul_lo_u16_sdwa v0, v48, s6 dst_sel:DWORD dst_unused:UNUSED_PAD src0_sel:BYTE_0 src1_sel:DWORD
	v_lshrrev_b16_e32 v2, 10, v0
	v_mul_lo_u16_e32 v0, 6, v2
	v_sub_u16_e32 v49, v48, v0
	v_mov_b32_e32 v3, 5
	v_mul_u32_u24_sdwa v0, v49, v3 dst_sel:DWORD dst_unused:UNUSED_PAD src0_sel:BYTE_0 src1_sel:DWORD
	v_lshlrev_b32_e32 v0, 4, v0
	s_waitcnt lgkmcnt(0)
	s_barrier
	global_load_dwordx4 v[18:21], v0, s[8:9] offset:32
	s_mov_b32 s6, 0xaaab
	v_mul_u32_u24_sdwa v1, v54, s6 dst_sel:DWORD dst_unused:UNUSED_PAD src0_sel:WORD_0 src1_sel:DWORD
	v_lshrrev_b32_e32 v53, 18, v1
	v_mul_lo_u16_e32 v1, 6, v53
	v_sub_u16_e32 v57, v54, v1
	v_mul_u32_u24_e32 v1, 5, v57
	v_lshlrev_b32_e32 v1, 4, v1
	global_load_dwordx4 v[36:39], v1, s[8:9] offset:16
	global_load_dwordx4 v[40:43], v0, s[8:9] offset:48
	;; [unrolled: 1-line block ×5, first 2 shown]
	global_load_dwordx4 v[67:70], v0, s[8:9]
	global_load_dwordx4 v[71:74], v0, s[8:9] offset:16
	global_load_dwordx4 v[75:78], v1, s[8:9]
	global_load_dwordx4 v[79:82], v1, s[8:9] offset:64
	ds_read2_b64 v[83:86], v16 offset0:24 offset1:240
	v_mul_u32_u24_e32 v53, 0x120, v53
	v_lshlrev_b32_e32 v57, 3, v57
	v_add3_u32 v53, 0, v53, v57
	s_mov_b32 s6, 0xe38f
	s_waitcnt vmcnt(8) lgkmcnt(0)
	v_mul_f64 v[14:15], v[83:84], v[38:39]
	v_mul_f64 v[0:1], v[85:86], v[20:21]
	;; [unrolled: 1-line block ×4, first 2 shown]
	ds_read2_b64 v[20:23], v9 offset0:8 offset1:224
	v_fma_f64 v[14:15], v[10:11], v[36:37], v[14:15]
	v_fma_f64 v[0:1], v[12:13], v[18:19], v[0:1]
	ds_read2_b64 v[10:13], v17 offset0:24 offset1:240
	v_fma_f64 v[6:7], v[85:86], v[18:19], -v[6:7]
	s_waitcnt vmcnt(7) lgkmcnt(1)
	v_mul_f64 v[18:19], v[22:23], v[42:43]
	v_mul_f64 v[42:43], v[30:31], v[42:43]
	s_waitcnt vmcnt(6)
	v_mul_f64 v[85:86], v[20:21], v[46:47]
	v_fma_f64 v[36:37], v[83:84], v[36:37], -v[38:39]
	v_mul_f64 v[38:39], v[28:29], v[46:47]
	s_waitcnt vmcnt(5) lgkmcnt(0)
	v_mul_f64 v[46:47], v[12:13], v[61:62]
	v_mul_f64 v[61:62], v[34:35], v[61:62]
	s_waitcnt vmcnt(4)
	v_mul_f64 v[83:84], v[10:11], v[65:66]
	v_fma_f64 v[18:19], v[30:31], v[40:41], v[18:19]
	v_fma_f64 v[22:23], v[22:23], v[40:41], -v[42:43]
	s_waitcnt vmcnt(3)
	v_mul_f64 v[40:41], v[93:94], v[69:70]
	v_mul_f64 v[30:31], v[32:33], v[65:66]
	v_fma_f64 v[20:21], v[20:21], v[44:45], -v[38:39]
	ds_read_b64 v[38:39], v26
	ds_read_b64 v[42:43], v27
	v_fma_f64 v[12:13], v[12:13], v[59:60], -v[61:62]
	v_fma_f64 v[28:29], v[28:29], v[44:45], v[85:86]
	v_fma_f64 v[34:35], v[34:35], v[59:60], v[46:47]
	s_waitcnt lgkmcnt(1)
	v_mul_f64 v[44:45], v[38:39], v[69:70]
	s_waitcnt vmcnt(2) lgkmcnt(0)
	v_mul_f64 v[59:60], v[42:43], v[73:74]
	v_fma_f64 v[38:39], v[38:39], v[67:68], -v[40:41]
	v_fma_f64 v[10:11], v[10:11], v[63:64], -v[30:31]
	ds_read_b64 v[30:31], v25 offset:19008
	ds_read_b64 v[61:62], v25 offset:5184
	ds_read_b64 v[65:66], v25
	v_add_f64 v[40:41], v[6:7], v[12:13]
	v_fma_f64 v[32:33], v[32:33], v[63:64], v[83:84]
	ds_read_b64 v[46:47], v8
	v_mul_f64 v[63:64], v[87:88], v[73:74]
	s_waitcnt vmcnt(1) lgkmcnt(2)
	v_mul_f64 v[69:70], v[61:62], v[77:78]
	v_fma_f64 v[44:45], v[93:94], v[67:68], v[44:45]
	v_fma_f64 v[59:60], v[87:88], v[71:72], v[59:60]
	v_add_f64 v[67:68], v[0:1], v[34:35]
	v_add_f64 v[73:74], v[0:1], -v[34:35]
	v_fma_f64 v[40:41], v[40:41], -0.5, v[38:39]
	v_mul_f64 v[77:78], v[91:92], v[77:78]
	v_fma_f64 v[42:43], v[42:43], v[71:72], -v[63:64]
	v_fma_f64 v[63:64], v[91:92], v[75:76], v[69:70]
	s_waitcnt vmcnt(0)
	v_mul_f64 v[69:70], v[30:31], v[81:82]
	v_add_f64 v[71:72], v[59:60], v[18:19]
	v_fma_f64 v[67:68], v[67:68], -0.5, v[44:45]
	v_add_f64 v[83:84], v[6:7], -v[12:13]
	v_fma_f64 v[85:86], v[73:74], s[0:1], v[40:41]
	v_fma_f64 v[61:62], v[61:62], v[75:76], -v[77:78]
	v_mul_f64 v[75:76], v[95:96], v[81:82]
	v_add_f64 v[0:1], v[44:45], v[0:1]
	v_fma_f64 v[44:45], v[95:96], v[79:80], v[69:70]
	v_fma_f64 v[69:70], v[71:72], -0.5, v[89:90]
	v_add_f64 v[71:72], v[89:90], v[59:60]
	v_fma_f64 v[77:78], v[83:84], s[4:5], v[67:68]
	v_mul_f64 v[81:82], v[85:86], s[4:5]
	v_add_f64 v[87:88], v[42:43], -v[22:23]
	v_fma_f64 v[30:31], v[30:31], v[79:80], -v[75:76]
	v_mul_u32_u24_e32 v75, 0x120, v2
	v_mov_b32_e32 v2, 3
	v_lshlrev_b32_sdwa v49, v2, v49 dst_sel:DWORD dst_unused:UNUSED_PAD src0_sel:DWORD src1_sel:BYTE_0
	v_add_f64 v[0:1], v[0:1], v[34:35]
	v_add_f64 v[34:35], v[71:72], v[18:19]
	v_fma_f64 v[40:41], v[73:74], s[4:5], v[40:41]
	v_fma_f64 v[71:72], v[77:78], 0.5, v[81:82]
	v_fma_f64 v[73:74], v[87:88], s[4:5], v[69:70]
	v_add3_u32 v49, 0, v75, v49
	v_add_f64 v[75:76], v[20:21], v[30:31]
	v_fma_f64 v[67:68], v[83:84], s[0:1], v[67:68]
	v_add_f64 v[89:90], v[28:29], v[44:45]
	v_add_f64 v[81:82], v[34:35], v[0:1]
	v_add_f64 v[91:92], v[28:29], -v[44:45]
	s_waitcnt lgkmcnt(0)
	v_add_f64 v[83:84], v[73:74], v[71:72]
	v_mul_f64 v[79:80], v[40:41], s[4:5]
	v_fma_f64 v[75:76], v[75:76], -0.5, v[61:62]
	s_barrier
	v_fma_f64 v[69:70], v[87:88], s[0:1], v[69:70]
	v_add_f64 v[87:88], v[20:21], -v[30:31]
	v_add_f64 v[28:29], v[63:64], v[28:29]
	ds_write2_b64 v49, v[81:82], v[83:84] offset1:6
	v_add_f64 v[81:82], v[14:15], v[32:33]
	v_fma_f64 v[83:84], v[89:90], -0.5, v[63:64]
	v_fma_f64 v[89:90], v[91:92], s[0:1], v[75:76]
	v_fma_f64 v[75:76], v[91:92], s[4:5], v[75:76]
	v_fma_f64 v[79:80], v[67:68], -0.5, v[79:80]
	v_add_f64 v[93:94], v[36:37], -v[10:11]
	v_add_f64 v[0:1], v[34:35], -v[0:1]
	;; [unrolled: 1-line block ×3, first 2 shown]
	v_fma_f64 v[63:64], v[81:82], -0.5, v[4:5]
	v_add_f64 v[4:5], v[4:5], v[14:15]
	v_fma_f64 v[81:82], v[87:88], s[4:5], v[83:84]
	v_mul_f64 v[91:92], v[89:90], s[4:5]
	v_fma_f64 v[83:84], v[87:88], s[0:1], v[83:84]
	v_mul_f64 v[87:88], v[75:76], s[4:5]
	v_add_f64 v[34:35], v[69:70], v[79:80]
	v_add_f64 v[28:29], v[28:29], v[44:45]
	v_fma_f64 v[73:74], v[93:94], s[4:5], v[63:64]
	v_add_f64 v[4:5], v[4:5], v[32:33]
	v_add_f64 v[69:70], v[69:70], -v[79:80]
	v_fma_f64 v[44:45], v[81:82], 0.5, v[91:92]
	v_fma_f64 v[63:64], v[93:94], s[0:1], v[63:64]
	v_fma_f64 v[79:80], v[83:84], -0.5, v[87:88]
	ds_write2_b64 v49, v[34:35], v[0:1] offset0:12 offset1:18
	ds_write2_b64 v49, v[71:72], v[69:70] offset0:24 offset1:30
	v_add_f64 v[0:1], v[4:5], v[28:29]
	v_add_f64 v[34:35], v[73:74], v[44:45]
	;; [unrolled: 1-line block ×3, first 2 shown]
	v_add_f64 v[4:5], v[4:5], -v[28:29]
	v_add_f64 v[28:29], v[63:64], v[79:80]
	v_add_f64 v[44:45], v[73:74], -v[44:45]
	v_add_f64 v[63:64], v[63:64], -v[79:80]
	v_add_f64 v[69:70], v[65:66], v[42:43]
	v_add_f64 v[42:43], v[42:43], v[22:23]
	ds_write2_b64 v53, v[0:1], v[34:35] offset1:6
	ds_write2_b64 v53, v[28:29], v[4:5] offset0:12 offset1:18
	ds_write2_b64 v53, v[44:45], v[63:64] offset0:24 offset1:30
	v_add_f64 v[6:7], v[6:7], v[12:13]
	v_mul_f64 v[12:13], v[40:41], -0.5
	v_add_f64 v[34:35], v[36:37], v[10:11]
	v_mul_f64 v[38:39], v[85:86], 0.5
	v_add_f64 v[4:5], v[69:70], v[22:23]
	v_fma_f64 v[22:23], v[42:43], -0.5, v[65:66]
	v_add_f64 v[18:19], v[59:60], -v[18:19]
	v_add_f64 v[14:15], v[14:15], -v[32:33]
	v_add_f64 v[20:21], v[61:62], v[20:21]
	v_fma_f64 v[40:41], v[67:68], s[0:1], v[12:13]
	v_add_f64 v[12:13], v[46:47], v[36:37]
	v_fma_f64 v[34:35], v[34:35], -0.5, v[46:47]
	v_mul_f64 v[42:43], v[89:90], 0.5
	v_mul_f64 v[44:45], v[75:76], -0.5
	v_fma_f64 v[28:29], v[77:78], s[0:1], v[38:39]
	v_fma_f64 v[38:39], v[18:19], s[0:1], v[22:23]
	;; [unrolled: 1-line block ×3, first 2 shown]
	v_add_f64 v[20:21], v[20:21], v[30:31]
	v_add_f64 v[46:47], v[12:13], v[10:11]
	v_fma_f64 v[59:60], v[14:15], s[0:1], v[34:35]
	v_fma_f64 v[30:31], v[81:82], s[0:1], v[42:43]
	;; [unrolled: 1-line block ×4, first 2 shown]
	v_add_f64 v[32:33], v[4:5], v[6:7]
	v_add_f64 v[34:35], v[38:39], v[28:29]
	v_add_f64 v[36:37], v[4:5], -v[6:7]
	v_add_f64 v[44:45], v[18:19], v[40:41]
	v_add_f64 v[28:29], v[38:39], -v[28:29]
	v_add_f64 v[38:39], v[18:19], -v[40:41]
	v_add_f64 v[40:41], v[46:47], v[20:21]
	v_add_f64 v[61:62], v[59:60], v[30:31]
	v_add_f64 v[46:47], v[46:47], -v[20:21]
	v_add_f64 v[30:31], v[59:60], -v[30:31]
	v_add_f64 v[59:60], v[14:15], v[42:43]
	v_add_f64 v[14:15], v[14:15], -v[42:43]
	s_waitcnt lgkmcnt(0)
	s_barrier
	ds_read_b64 v[87:88], v27
	ds_read_b64 v[0:1], v8
	;; [unrolled: 1-line block ×3, first 2 shown]
	ds_read_b64 v[91:92], v25 offset:5184
	ds_read_b64 v[93:94], v26
	ds_read_b64 v[95:96], v25 offset:19008
	ds_read2_b64 v[4:7], v16 offset0:24 offset1:240
	ds_read2_b64 v[10:13], v9 offset0:8 offset1:224
	;; [unrolled: 1-line block ×3, first 2 shown]
	s_waitcnt lgkmcnt(0)
	s_barrier
	ds_write2_b64 v49, v[32:33], v[34:35] offset1:6
	ds_write2_b64 v49, v[44:45], v[36:37] offset0:12 offset1:18
	ds_write2_b64 v49, v[28:29], v[38:39] offset0:24 offset1:30
	ds_write2_b64 v53, v[40:41], v[61:62] offset1:6
	ds_write2_b64 v53, v[59:60], v[46:47] offset0:12 offset1:18
	ds_write2_b64 v53, v[30:31], v[14:15] offset0:24 offset1:30
	v_mov_b32_e32 v14, 57
	v_mul_lo_u16_sdwa v14, v48, v14 dst_sel:DWORD dst_unused:UNUSED_PAD src0_sel:BYTE_0 src1_sel:DWORD
	v_lshrrev_b16_e32 v49, 11, v14
	v_mul_lo_u16_e32 v14, 36, v49
	v_sub_u16_e32 v53, v48, v14
	v_mul_u32_u24_sdwa v3, v53, v3 dst_sel:DWORD dst_unused:UNUSED_PAD src0_sel:BYTE_0 src1_sel:DWORD
	v_lshlrev_b32_e32 v3, 4, v3
	s_waitcnt lgkmcnt(0)
	s_barrier
	global_load_dwordx4 v[28:31], v3, s[8:9] offset:512
	v_mul_u32_u24_sdwa v14, v54, s6 dst_sel:DWORD dst_unused:UNUSED_PAD src0_sel:WORD_0 src1_sel:DWORD
	v_lshrrev_b32_e32 v57, 21, v14
	v_mul_lo_u16_e32 v14, 36, v57
	v_sub_u16_e32 v99, v54, v14
	v_mul_u32_u24_e32 v14, 5, v99
	v_lshlrev_b32_e32 v14, 4, v14
	global_load_dwordx4 v[32:35], v14, s[8:9] offset:496
	global_load_dwordx4 v[36:39], v3, s[8:9] offset:528
	;; [unrolled: 1-line block ×9, first 2 shown]
	ds_read2_b64 v[79:82], v16 offset0:24 offset1:240
	ds_read2_b64 v[83:86], v9 offset0:8 offset1:224
	v_lshlrev_b32_sdwa v2, v2, v53 dst_sel:DWORD dst_unused:UNUSED_PAD src0_sel:DWORD src1_sel:BYTE_0
	s_waitcnt vmcnt(8) lgkmcnt(1)
	v_mul_f64 v[89:90], v[79:80], v[34:35]
	v_mul_f64 v[14:15], v[81:82], v[30:31]
	;; [unrolled: 1-line block ×3, first 2 shown]
	s_waitcnt vmcnt(6) lgkmcnt(0)
	v_mul_f64 v[97:98], v[83:84], v[42:43]
	v_mul_f64 v[42:43], v[10:11], v[42:43]
	v_fma_f64 v[6:7], v[6:7], v[28:29], v[14:15]
	v_mul_f64 v[14:15], v[4:5], v[34:35]
	v_mul_f64 v[34:35], v[85:86], v[38:39]
	v_fma_f64 v[81:82], v[81:82], v[28:29], -v[30:31]
	ds_read2_b64 v[28:31], v17 offset0:24 offset1:240
	v_mul_f64 v[38:39], v[12:13], v[38:39]
	v_fma_f64 v[3:4], v[4:5], v[32:33], v[89:90]
	v_fma_f64 v[10:11], v[10:11], v[40:41], v[97:98]
	v_fma_f64 v[14:15], v[79:80], v[32:33], -v[14:15]
	v_fma_f64 v[12:13], v[12:13], v[36:37], v[34:35]
	s_waitcnt vmcnt(5)
	v_mul_f64 v[34:35], v[20:21], v[46:47]
	s_waitcnt lgkmcnt(0)
	v_mul_f64 v[32:33], v[30:31], v[46:47]
	v_fma_f64 v[36:37], v[85:86], v[36:37], -v[38:39]
	v_fma_f64 v[38:39], v[83:84], v[40:41], -v[42:43]
	s_waitcnt vmcnt(4)
	v_mul_f64 v[40:41], v[28:29], v[61:62]
	s_waitcnt vmcnt(3)
	v_mul_f64 v[46:47], v[93:94], v[65:66]
	ds_read_b64 v[42:43], v26
	v_fma_f64 v[30:31], v[30:31], v[44:45], -v[34:35]
	v_fma_f64 v[20:21], v[20:21], v[44:45], v[32:33]
	ds_read_b64 v[44:45], v27
	s_waitcnt lgkmcnt(1)
	v_mul_f64 v[34:35], v[42:43], v[65:66]
	v_fma_f64 v[40:41], v[18:19], v[59:60], v[40:41]
	v_mul_f64 v[18:19], v[18:19], v[61:62]
	v_fma_f64 v[42:43], v[42:43], v[63:64], -v[46:47]
	s_waitcnt vmcnt(2) lgkmcnt(0)
	v_mul_f64 v[61:62], v[44:45], v[69:70]
	v_add_f64 v[79:80], v[81:82], v[30:31]
	ds_read_b64 v[32:33], v25 offset:19008
	ds_read_b64 v[65:66], v25 offset:5184
	ds_read_b64 v[46:47], v8
	v_fma_f64 v[34:35], v[93:94], v[63:64], v[34:35]
	v_mul_f64 v[63:64], v[87:88], v[69:70]
	ds_read_b64 v[69:70], v25
	s_waitcnt vmcnt(1) lgkmcnt(2)
	v_mul_f64 v[83:84], v[65:66], v[73:74]
	v_add_f64 v[85:86], v[6:7], v[20:21]
	v_fma_f64 v[61:62], v[87:88], v[67:68], v[61:62]
	v_add_f64 v[87:88], v[6:7], -v[20:21]
	v_fma_f64 v[79:80], v[79:80], -0.5, v[42:43]
	v_mul_f64 v[73:74], v[91:92], v[73:74]
	v_fma_f64 v[18:19], v[28:29], v[59:60], -v[18:19]
	v_fma_f64 v[28:29], v[44:45], v[67:68], -v[63:64]
	v_fma_f64 v[44:45], v[91:92], v[71:72], v[83:84]
	v_fma_f64 v[59:60], v[85:86], -0.5, v[34:35]
	v_add_f64 v[63:64], v[61:62], v[12:13]
	v_add_f64 v[67:68], v[81:82], -v[30:31]
	v_fma_f64 v[83:84], v[87:88], s[0:1], v[79:80]
	v_fma_f64 v[65:66], v[65:66], v[71:72], -v[73:74]
	s_waitcnt vmcnt(0)
	v_mul_f64 v[73:74], v[95:96], v[77:78]
	v_mul_f64 v[71:72], v[32:33], v[77:78]
	v_add_f64 v[5:6], v[34:35], v[6:7]
	v_add_f64 v[34:35], v[22:23], v[61:62]
	v_fma_f64 v[22:23], v[63:64], -0.5, v[22:23]
	v_fma_f64 v[63:64], v[67:68], s[4:5], v[59:60]
	v_mul_f64 v[77:78], v[83:84], s[4:5]
	v_add_f64 v[85:86], v[28:29], -v[36:37]
	v_fma_f64 v[32:33], v[32:33], v[75:76], -v[73:74]
	v_fma_f64 v[71:72], v[95:96], v[75:76], v[71:72]
	v_add_f64 v[5:6], v[5:6], v[20:21]
	v_add_f64 v[20:21], v[34:35], v[12:13]
	v_fma_f64 v[34:35], v[87:88], s[4:5], v[79:80]
	v_mul_u32_u24_e32 v7, 0x6c0, v49
	v_fma_f64 v[73:74], v[63:64], 0.5, v[77:78]
	v_fma_f64 v[75:76], v[85:86], s[4:5], v[22:23]
	v_add_f64 v[77:78], v[38:39], v[32:33]
	v_add_f64 v[89:90], v[10:11], v[71:72]
	v_add_f64 v[91:92], v[10:11], -v[71:72]
	v_add_f64 v[79:80], v[20:21], v[5:6]
	v_add3_u32 v49, 0, v7, v2
	s_waitcnt lgkmcnt(0)
	v_fma_f64 v[59:60], v[67:68], s[0:1], v[59:60]
	v_add_f64 v[87:88], v[75:76], v[73:74]
	v_fma_f64 v[77:78], v[77:78], -0.5, v[65:66]
	v_mul_f64 v[67:68], v[34:35], s[4:5]
	s_barrier
	v_fma_f64 v[22:23], v[85:86], s[0:1], v[22:23]
	v_fma_f64 v[85:86], v[89:90], -0.5, v[44:45]
	v_add_f64 v[10:11], v[44:45], v[10:11]
	ds_write2_b64 v49, v[79:80], v[87:88] offset1:36
	v_add_f64 v[79:80], v[3:4], v[40:41]
	v_add_f64 v[87:88], v[38:39], -v[32:33]
	v_fma_f64 v[89:90], v[91:92], s[0:1], v[77:78]
	v_fma_f64 v[77:78], v[91:92], s[4:5], v[77:78]
	v_fma_f64 v[67:68], v[59:60], -0.5, v[67:68]
	v_add_f64 v[93:94], v[14:15], -v[18:19]
	v_add_f64 v[5:6], v[20:21], -v[5:6]
	v_add_f64 v[10:11], v[10:11], v[71:72]
	v_fma_f64 v[44:45], v[79:80], -0.5, v[0:1]
	v_add_f64 v[0:1], v[0:1], v[3:4]
	v_fma_f64 v[79:80], v[87:88], s[4:5], v[85:86]
	v_mul_f64 v[91:92], v[89:90], s[4:5]
	v_fma_f64 v[85:86], v[87:88], s[0:1], v[85:86]
	v_mul_f64 v[87:88], v[77:78], s[4:5]
	v_add_f64 v[20:21], v[22:23], v[67:68]
	v_add_f64 v[22:23], v[22:23], -v[67:68]
	v_fma_f64 v[71:72], v[93:94], s[4:5], v[44:45]
	v_add_f64 v[0:1], v[0:1], v[40:41]
	v_add_f64 v[73:74], v[75:76], -v[73:74]
	v_fma_f64 v[67:68], v[79:80], 0.5, v[91:92]
	v_fma_f64 v[44:45], v[93:94], s[0:1], v[44:45]
	v_fma_f64 v[75:76], v[85:86], -0.5, v[87:88]
	ds_write2_b64 v49, v[20:21], v[5:6] offset0:72 offset1:108
	ds_write2_b64 v49, v[73:74], v[22:23] offset0:144 offset1:180
	v_add_f64 v[5:6], v[0:1], v[10:11]
	v_add_f64 v[20:21], v[71:72], v[67:68]
	v_add_f64 v[22:23], v[71:72], -v[67:68]
	v_add_f64 v[67:68], v[69:70], v[28:29]
	v_add_f64 v[28:29], v[28:29], v[36:37]
	v_add_f64 v[0:1], v[0:1], -v[10:11]
	v_add_f64 v[10:11], v[44:45], v[75:76]
	v_add_f64 v[44:45], v[44:45], -v[75:76]
	v_mul_u32_u24_e32 v2, 0x6c0, v57
	v_lshlrev_b32_e32 v7, 3, v99
	v_add3_u32 v53, 0, v2, v7
	v_add_f64 v[42:43], v[42:43], v[81:82]
	ds_write2_b64 v53, v[5:6], v[20:21] offset1:36
	ds_write2_b64 v53, v[10:11], v[0:1] offset0:72 offset1:108
	ds_write2_b64 v53, v[22:23], v[44:45] offset0:144 offset1:180
	v_fma_f64 v[0:1], v[28:29], -0.5, v[69:70]
	v_add_f64 v[10:11], v[61:62], -v[12:13]
	v_add_f64 v[28:29], v[14:15], v[18:19]
	v_mul_f64 v[71:72], v[83:84], 0.5
	v_mul_f64 v[22:23], v[34:35], -0.5
	v_add_f64 v[5:6], v[67:68], v[36:37]
	v_add_f64 v[12:13], v[42:43], v[30:31]
	;; [unrolled: 1-line block ×3, first 2 shown]
	s_waitcnt lgkmcnt(0)
	v_fma_f64 v[30:31], v[10:11], s[0:1], v[0:1]
	v_fma_f64 v[34:35], v[10:11], s[4:5], v[0:1]
	v_add_f64 v[10:11], v[46:47], v[14:15]
	v_fma_f64 v[14:15], v[28:29], -0.5, v[46:47]
	v_add_f64 v[28:29], v[3:4], -v[40:41]
	v_mul_f64 v[40:41], v[89:90], 0.5
	v_mul_f64 v[46:47], v[77:78], -0.5
	v_fma_f64 v[20:21], v[63:64], s[0:1], v[71:72]
	v_fma_f64 v[22:23], v[59:60], s[0:1], v[22:23]
	v_add_f64 v[38:39], v[5:6], v[12:13]
	v_add_f64 v[18:19], v[10:11], v[18:19]
	v_add_f64 v[42:43], v[5:6], -v[12:13]
	v_fma_f64 v[65:66], v[28:29], s[0:1], v[14:15]
	v_fma_f64 v[14:15], v[28:29], s[4:5], v[14:15]
	v_add_f64 v[28:29], v[36:37], v[32:33]
	v_fma_f64 v[32:33], v[79:80], s[0:1], v[40:41]
	v_fma_f64 v[36:37], v[85:86], s[0:1], v[46:47]
	v_add_f64 v[40:41], v[30:31], v[20:21]
	v_add_f64 v[20:21], v[30:31], -v[20:21]
	v_add_f64 v[30:31], v[34:35], v[22:23]
	v_add_f64 v[22:23], v[34:35], -v[22:23]
	s_barrier
	v_add_f64 v[34:35], v[18:19], v[28:29]
	v_add_f64 v[18:19], v[18:19], -v[28:29]
	v_add_f64 v[28:29], v[65:66], v[32:33]
	v_add_f64 v[46:47], v[14:15], v[36:37]
	v_add_f64 v[32:33], v[65:66], -v[32:33]
	v_add_f64 v[14:15], v[14:15], -v[36:37]
	ds_read_b64 v[61:62], v27
	ds_read_b64 v[63:64], v8
	;; [unrolled: 1-line block ×3, first 2 shown]
	ds_read_b64 v[44:45], v25 offset:5184
	ds_read_b64 v[59:60], v26
	ds_read_b64 v[69:70], v25 offset:19008
	ds_read2_b64 v[0:3], v16 offset0:24 offset1:240
	ds_read2_b64 v[4:7], v9 offset0:8 offset1:224
	;; [unrolled: 1-line block ×3, first 2 shown]
	s_waitcnt lgkmcnt(0)
	s_barrier
	ds_write2_b64 v49, v[38:39], v[40:41] offset1:36
	ds_write2_b64 v49, v[30:31], v[42:43] offset0:72 offset1:108
	ds_write2_b64 v49, v[20:21], v[22:23] offset0:144 offset1:180
	ds_write2_b64 v53, v[34:35], v[28:29] offset1:36
	ds_write2_b64 v53, v[46:47], v[18:19] offset0:72 offset1:108
	ds_write2_b64 v53, v[32:33], v[14:15] offset0:144 offset1:180
	v_mul_u32_u24_e32 v14, 5, v48
	v_lshlrev_b32_e32 v14, 4, v14
	s_waitcnt lgkmcnt(0)
	s_barrier
	global_load_dwordx4 v[18:21], v14, s[8:9] offset:3360
	global_load_dwordx4 v[28:31], v14, s[8:9] offset:3376
	;; [unrolled: 1-line block ×5, first 2 shown]
	ds_read_b64 v[14:15], v26
	ds_read_b64 v[46:47], v25 offset:5184
	ds_read_b64 v[65:66], v25 offset:19008
	ds_read_b64 v[75:76], v25
	v_add_u32_e32 v49, 0xd00, v25
	v_add_u32_e32 v53, 0x1a00, v25
	s_waitcnt vmcnt(4) lgkmcnt(3)
	v_mul_f64 v[71:72], v[14:15], v[20:21]
	v_mul_f64 v[73:74], v[59:60], v[20:21]
	s_waitcnt lgkmcnt(2)
	v_mul_f64 v[77:78], v[46:47], v[20:21]
	v_mul_f64 v[79:80], v[44:45], v[20:21]
	ds_read2_b64 v[20:23], v16 offset0:24 offset1:240
	s_waitcnt vmcnt(2)
	v_mul_f64 v[83:84], v[2:3], v[34:35]
	s_waitcnt vmcnt(1)
	v_mul_f64 v[85:86], v[12:13], v[38:39]
	v_mul_f64 v[81:82], v[0:1], v[30:31]
	v_fma_f64 v[59:60], v[59:60], v[18:19], v[71:72]
	v_fma_f64 v[71:72], v[14:15], v[18:19], -v[73:74]
	v_fma_f64 v[73:74], v[44:45], v[18:19], v[77:78]
	v_fma_f64 v[79:80], v[46:47], v[18:19], -v[79:80]
	s_waitcnt lgkmcnt(0)
	v_mul_f64 v[18:19], v[22:23], v[34:35]
	ds_read2_b64 v[14:17], v17 offset0:24 offset1:240
	v_mul_f64 v[77:78], v[20:21], v[30:31]
	ds_read2_b64 v[44:47], v9 offset0:8 offset1:224
	v_fma_f64 v[22:23], v[22:23], v[32:33], -v[83:84]
	v_fma_f64 v[81:82], v[20:21], v[28:29], -v[81:82]
	s_waitcnt vmcnt(0)
	v_mul_f64 v[20:21], v[6:7], v[42:43]
	v_fma_f64 v[2:3], v[2:3], v[32:33], v[18:19]
	s_waitcnt lgkmcnt(1)
	v_mul_f64 v[18:19], v[16:17], v[38:39]
	v_fma_f64 v[0:1], v[0:1], v[28:29], v[77:78]
	s_waitcnt lgkmcnt(0)
	v_mul_f64 v[77:78], v[44:45], v[34:35]
	v_mul_f64 v[34:35], v[4:5], v[34:35]
	v_fma_f64 v[16:17], v[16:17], v[36:37], -v[85:86]
	v_mul_f64 v[83:84], v[46:47], v[42:43]
	v_fma_f64 v[20:21], v[46:47], v[40:41], -v[20:21]
	v_fma_f64 v[12:13], v[12:13], v[36:37], v[18:19]
	ds_read_b64 v[18:19], v27
	v_fma_f64 v[4:5], v[4:5], v[32:33], v[77:78]
	v_fma_f64 v[33:34], v[44:45], v[32:33], -v[34:35]
	v_add_f64 v[44:45], v[22:23], v[16:17]
	v_mul_f64 v[77:78], v[14:15], v[42:43]
	s_waitcnt lgkmcnt(0)
	v_mul_f64 v[85:86], v[18:19], v[30:31]
	v_fma_f64 v[6:7], v[6:7], v[40:41], v[83:84]
	v_add_f64 v[46:47], v[2:3], v[12:13]
	v_add_f64 v[87:88], v[2:3], -v[12:13]
	v_mul_f64 v[42:43], v[10:11], v[42:43]
	v_mul_f64 v[30:31], v[61:62], v[30:31]
	v_fma_f64 v[44:45], v[44:45], -0.5, v[71:72]
	v_fma_f64 v[9:10], v[10:11], v[40:41], v[77:78]
	v_fma_f64 v[61:62], v[61:62], v[28:29], v[85:86]
	v_mul_f64 v[77:78], v[69:70], v[38:39]
	v_fma_f64 v[46:47], v[46:47], -0.5, v[59:60]
	v_add_f64 v[85:86], v[22:23], -v[16:17]
	v_mul_f64 v[38:39], v[65:66], v[38:39]
	v_fma_f64 v[18:19], v[18:19], v[28:29], -v[30:31]
	v_fma_f64 v[89:90], v[87:88], s[0:1], v[44:45]
	v_add_f64 v[2:3], v[59:60], v[2:3]
	v_add_f64 v[28:29], v[61:62], v[6:7]
	v_fma_f64 v[59:60], v[65:66], v[36:37], -v[77:78]
	v_add_f64 v[30:31], v[67:68], v[61:62]
	v_fma_f64 v[65:66], v[85:86], s[4:5], v[46:47]
	v_fma_f64 v[40:41], v[14:15], v[40:41], -v[42:43]
	v_fma_f64 v[14:15], v[69:70], v[36:37], v[38:39]
	v_mul_f64 v[77:78], v[89:90], s[4:5]
	v_add_f64 v[2:3], v[2:3], v[12:13]
	v_fma_f64 v[11:12], v[28:29], -0.5, v[67:68]
	v_add_f64 v[28:29], v[33:34], v[59:60]
	v_add_f64 v[35:36], v[18:19], -v[20:21]
	v_add_f64 v[30:31], v[30:31], v[6:7]
	v_fma_f64 v[44:45], v[87:88], s[4:5], v[44:45]
	v_add_f64 v[42:43], v[4:5], v[14:15]
	v_fma_f64 v[37:38], v[65:66], 0.5, v[77:78]
	v_add_f64 v[67:68], v[4:5], -v[14:15]
	v_add_f64 v[87:88], v[0:1], v[9:10]
	v_fma_f64 v[28:29], v[28:29], -0.5, v[79:80]
	v_fma_f64 v[69:70], v[35:36], s[4:5], v[11:12]
	v_add_f64 v[77:78], v[30:31], v[2:3]
	v_add_f64 v[91:92], v[33:34], -v[59:60]
	v_fma_f64 v[42:43], v[42:43], -0.5, v[73:74]
	v_fma_f64 v[46:47], v[85:86], s[0:1], v[46:47]
	v_mul_f64 v[85:86], v[44:45], s[4:5]
	ds_read_b64 v[83:84], v8
	v_fma_f64 v[93:94], v[67:68], s[0:1], v[28:29]
	v_add_f64 v[95:96], v[69:70], v[37:38]
	v_fma_f64 v[67:68], v[67:68], s[4:5], v[28:29]
	s_waitcnt lgkmcnt(0)
	s_barrier
	v_add_f64 v[4:5], v[73:74], v[4:5]
	v_add_f64 v[73:74], v[63:64], v[0:1]
	v_fma_f64 v[63:64], v[87:88], -0.5, v[63:64]
	v_fma_f64 v[87:88], v[91:92], s[4:5], v[42:43]
	v_mul_f64 v[97:98], v[93:94], s[4:5]
	v_add_f64 v[99:100], v[81:82], -v[40:41]
	ds_write2_b64 v25, v[77:78], v[95:96] offset1:216
	v_fma_f64 v[11:12], v[35:36], s[0:1], v[11:12]
	v_fma_f64 v[28:29], v[46:47], -0.5, v[85:86]
	v_fma_f64 v[42:43], v[91:92], s[0:1], v[42:43]
	v_mul_f64 v[77:78], v[67:68], s[4:5]
	v_add_f64 v[4:5], v[4:5], v[14:15]
	v_add_f64 v[13:14], v[73:74], v[9:10]
	v_fma_f64 v[35:36], v[87:88], 0.5, v[97:98]
	v_fma_f64 v[73:74], v[99:100], s[4:5], v[63:64]
	v_add_f64 v[2:3], v[30:31], -v[2:3]
	v_add_f64 v[30:31], v[11:12], v[28:29]
	v_add_f64 v[37:38], v[69:70], -v[37:38]
	v_add_f64 v[11:12], v[11:12], -v[28:29]
	v_fma_f64 v[63:64], v[99:100], s[0:1], v[63:64]
	v_fma_f64 v[77:78], v[42:43], -0.5, v[77:78]
	v_add_f64 v[69:70], v[13:14], v[4:5]
	v_add_f64 v[85:86], v[73:74], v[35:36]
	;; [unrolled: 1-line block ×3, first 2 shown]
	ds_write2_b64 v49, v[30:31], v[2:3] offset0:16 offset1:232
	v_add_f64 v[2:3], v[13:14], -v[4:5]
	ds_write2_b64 v53, v[37:38], v[11:12] offset0:32 offset1:248
	v_add_f64 v[11:12], v[73:74], -v[35:36]
	v_add_f64 v[4:5], v[63:64], v[77:78]
	v_add_f64 v[31:32], v[75:76], v[18:19]
	;; [unrolled: 1-line block ×3, first 2 shown]
	v_mul_f64 v[35:36], v[44:45], -0.5
	v_add_u32_e32 v29, 0x3600, v25
	v_add_f64 v[13:14], v[63:64], -v[77:78]
	v_add_f64 v[44:45], v[22:23], v[16:17]
	v_mul_f64 v[16:17], v[89:90], 0.5
	ds_write2_b64 v29, v[4:5], v[2:3] offset1:216
	v_add_f64 v[4:5], v[61:62], -v[6:7]
	v_fma_f64 v[2:3], v[18:19], -0.5, v[75:76]
	v_fma_f64 v[6:7], v[46:47], s[0:1], v[35:36]
	v_add_f64 v[35:36], v[81:82], v[40:41]
	v_add_u32_e32 v28, 0x2800, v25
	v_add_u32_e32 v30, 0x4300, v25
	v_add_f64 v[37:38], v[31:32], v[20:21]
	v_lshl_add_u32 v31, v58, 3, 0
	ds_write2_b64 v28, v[69:70], v[85:86] offset0:16 offset1:232
	ds_write2_b64 v30, v[11:12], v[13:14] offset0:16 offset1:232
	s_waitcnt lgkmcnt(0)
	s_barrier
	v_lshl_add_u32 v32, v56, 3, 0
	ds_read_b64 v[12:13], v25
	ds_read_b64 v[14:15], v26
	v_fma_f64 v[46:47], v[4:5], s[4:5], v[2:3]
	v_fma_f64 v[61:62], v[4:5], s[0:1], v[2:3]
	ds_read_b64 v[18:19], v31
	ds_read_b64 v[20:21], v27
	v_fma_f64 v[63:64], v[65:66], s[0:1], v[16:17]
	ds_read_b64 v[16:17], v8
	ds_read_b64 v[22:23], v32
	v_add_f64 v[4:5], v[83:84], v[81:82]
	v_fma_f64 v[35:36], v[35:36], -0.5, v[83:84]
	v_add_f64 v[8:9], v[0:1], -v[9:10]
	v_add_f64 v[10:11], v[79:80], v[33:34]
	v_mul_f64 v[65:66], v[93:94], 0.5
	v_mul_f64 v[67:68], v[67:68], -0.5
	v_add_f64 v[33:34], v[46:47], v[6:7]
	v_add_f64 v[46:47], v[46:47], -v[6:7]
	v_add_f64 v[39:40], v[4:5], v[40:41]
	ds_read2_b64 v[0:3], v28 offset0:16 offset1:232
	v_fma_f64 v[69:70], v[8:9], s[0:1], v[35:36]
	v_add_f64 v[59:60], v[10:11], v[59:60]
	v_fma_f64 v[65:66], v[87:88], s[0:1], v[65:66]
	v_fma_f64 v[35:36], v[8:9], s[4:5], v[35:36]
	;; [unrolled: 1-line block ×3, first 2 shown]
	v_add_f64 v[67:68], v[37:38], -v[44:45]
	v_add_f64 v[37:38], v[37:38], v[44:45]
	v_add_f64 v[43:44], v[61:62], -v[63:64]
	v_add_f64 v[61:62], v[61:62], v[63:64]
	ds_read2_b64 v[4:7], v29 offset1:216
	ds_read2_b64 v[8:11], v30 offset0:16 offset1:232
	v_add_f64 v[63:64], v[39:40], v[59:60]
	v_add_f64 v[39:40], v[39:40], -v[59:60]
	v_add_f64 v[59:60], v[69:70], v[65:66]
	v_add_f64 v[65:66], v[69:70], -v[65:66]
	v_add_f64 v[69:70], v[35:36], v[41:42]
	v_add_f64 v[35:36], v[35:36], -v[41:42]
	s_waitcnt lgkmcnt(0)
	s_barrier
	ds_write2_b64 v49, v[33:34], v[67:68] offset0:16 offset1:232
	ds_write2_b64 v53, v[43:44], v[46:47] offset0:32 offset1:248
	ds_write2_b64 v25, v[37:38], v[61:62] offset1:216
	ds_write2_b64 v28, v[63:64], v[59:60] offset0:16 offset1:232
	ds_write2_b64 v29, v[69:70], v[39:40] offset1:216
	ds_write2_b64 v30, v[65:66], v[35:36] offset0:16 offset1:232
	s_waitcnt lgkmcnt(0)
	s_barrier
	s_and_saveexec_b64 s[0:1], vcc
	s_cbranch_execz .LBB0_15
; %bb.14:
	v_mov_b32_e32 v57, 0
	v_lshlrev_b64 v[33:34], 4, v[56:57]
	v_mov_b32_e32 v47, s9
	v_add_co_u32_e32 v33, vcc, s8, v33
	v_addc_co_u32_e32 v34, vcc, v47, v34, vcc
	v_add_co_u32_e32 v41, vcc, 0x5000, v33
	v_mov_b32_e32 v56, v57
	v_addc_co_u32_e32 v42, vcc, 0, v34, vcc
	v_lshlrev_b64 v[33:34], 4, v[55:56]
	s_movk_i32 s0, 0x5000
	v_add_co_u32_e32 v33, vcc, s8, v33
	v_addc_co_u32_e32 v34, vcc, v47, v34, vcc
	v_add_co_u32_e32 v43, vcc, s0, v33
	v_mov_b32_e32 v59, v57
	v_addc_co_u32_e32 v44, vcc, 0, v34, vcc
	global_load_dwordx4 v[33:36], v[41:42], off offset:160
	global_load_dwordx4 v[37:40], v[43:44], off offset:160
	v_lshlrev_b64 v[41:42], 4, v[58:59]
	v_mov_b32_e32 v53, v57
	v_add_co_u32_e32 v41, vcc, s8, v41
	v_addc_co_u32_e32 v42, vcc, v47, v42, vcc
	v_add_co_u32_e32 v45, vcc, s0, v41
	v_addc_co_u32_e32 v46, vcc, 0, v42, vcc
	v_lshlrev_b64 v[41:42], 4, v[52:53]
	v_mov_b32_e32 v55, v57
	v_add_co_u32_e32 v41, vcc, s8, v41
	v_addc_co_u32_e32 v42, vcc, v47, v42, vcc
	v_add_co_u32_e32 v52, vcc, s0, v41
	v_addc_co_u32_e32 v53, vcc, 0, v42, vcc
	global_load_dwordx4 v[41:44], v[45:46], off offset:160
	global_load_dwordx4 v[58:61], v[52:53], off offset:160
	v_lshlrev_b64 v[45:46], 4, v[54:55]
	v_mov_b32_e32 v49, v57
	v_add_co_u32_e32 v45, vcc, s8, v45
	v_addc_co_u32_e32 v46, vcc, v47, v46, vcc
	v_add_co_u32_e32 v45, vcc, s0, v45
	v_addc_co_u32_e32 v46, vcc, 0, v46, vcc
	global_load_dwordx4 v[62:65], v[45:46], off offset:160
	v_lshlrev_b64 v[45:46], 4, v[48:49]
	v_mov_b32_e32 v49, s13
	v_add_co_u32_e32 v45, vcc, s8, v45
	v_addc_co_u32_e32 v46, vcc, v47, v46, vcc
	v_add_co_u32_e32 v45, vcc, s0, v45
	v_addc_co_u32_e32 v46, vcc, 0, v46, vcc
	global_load_dwordx4 v[66:69], v[45:46], off offset:160
	v_mul_i32_i24_e32 v47, 0xffffffd8, v54
	ds_read_b64 v[45:46], v32
	ds_read2_b64 v[52:55], v30 offset0:16 offset1:232
	ds_read_b64 v[56:57], v31
	ds_read2_b64 v[29:32], v29 offset1:216
	ds_read2_b64 v[70:73], v28 offset0:16 offset1:232
	ds_read_b64 v[74:75], v27
	ds_read_b64 v[76:77], v26
	;; [unrolled: 1-line block ×3, first 2 shown]
	v_add_u32_e32 v47, v24, v47
	s_mov_b32 s5, 0xca4587e7
	s_movk_i32 s4, 0x510
	s_waitcnt vmcnt(5)
	v_mul_f64 v[24:25], v[10:11], v[35:36]
	s_waitcnt lgkmcnt(6)
	v_mul_f64 v[26:27], v[54:55], v[35:36]
	s_waitcnt vmcnt(4)
	v_mul_f64 v[35:36], v[8:9], v[39:40]
	v_mul_f64 v[39:40], v[52:53], v[39:40]
	v_fma_f64 v[24:25], v[54:55], v[33:34], -v[24:25]
	v_fma_f64 v[10:11], v[10:11], v[33:34], v[26:27]
	v_fma_f64 v[26:27], v[52:53], v[37:38], -v[35:36]
	v_fma_f64 v[8:9], v[8:9], v[37:38], v[39:40]
	ds_read_b64 v[52:53], v47
	v_mad_u64_u32 v[54:55], s[0:1], s2, v48, 0
	v_add_f64 v[8:9], v[20:21], -v[8:9]
	s_waitcnt vmcnt(3)
	v_mul_f64 v[80:81], v[6:7], v[43:44]
	s_waitcnt lgkmcnt(5)
	v_mul_f64 v[43:44], v[31:32], v[43:44]
	s_waitcnt vmcnt(2)
	v_mul_f64 v[82:83], v[4:5], v[60:61]
	v_mul_f64 v[60:61], v[29:30], v[60:61]
	v_fma_f64 v[20:21], v[20:21], 2.0, -v[8:9]
	v_fma_f64 v[31:32], v[31:32], v[41:42], -v[80:81]
	v_fma_f64 v[33:34], v[6:7], v[41:42], v[43:44]
	v_add_f64 v[6:7], v[45:46], -v[24:25]
	v_fma_f64 v[28:29], v[29:30], v[58:59], -v[82:83]
	s_waitcnt vmcnt(1)
	v_mul_f64 v[84:85], v[2:3], v[64:65]
	s_waitcnt lgkmcnt(4)
	v_mul_f64 v[64:65], v[72:73], v[64:65]
	v_fma_f64 v[40:41], v[4:5], v[58:59], v[60:61]
	v_add_f64 v[4:5], v[22:23], -v[10:11]
	s_waitcnt lgkmcnt(3)
	v_add_f64 v[10:11], v[74:75], -v[26:27]
	v_add_f64 v[24:25], v[18:19], -v[33:34]
	v_fma_f64 v[34:35], v[45:46], 2.0, -v[6:7]
	v_add_f64 v[26:27], v[56:57], -v[31:32]
	v_fma_f64 v[42:43], v[72:73], v[62:63], -v[84:85]
	v_fma_f64 v[44:45], v[2:3], v[62:63], v[64:65]
	s_waitcnt lgkmcnt(2)
	v_add_f64 v[30:31], v[76:77], -v[28:29]
	s_waitcnt vmcnt(0)
	v_mul_f64 v[86:87], v[0:1], v[68:69]
	v_mul_f64 v[68:69], v[70:71], v[68:69]
	v_fma_f64 v[36:37], v[18:19], 2.0, -v[24:25]
	v_add_f64 v[28:29], v[14:15], -v[40:41]
	v_fma_f64 v[38:39], v[56:57], 2.0, -v[26:27]
	s_waitcnt lgkmcnt(0)
	v_add_f64 v[2:3], v[52:53], -v[42:43]
	v_fma_f64 v[32:33], v[22:23], 2.0, -v[4:5]
	v_fma_f64 v[42:43], v[76:77], 2.0, -v[30:31]
	v_fma_f64 v[46:47], v[70:71], v[66:67], -v[86:87]
	v_fma_f64 v[18:19], v[0:1], v[66:67], v[68:69]
	v_add_f64 v[0:1], v[16:17], -v[44:45]
	v_fma_f64 v[40:41], v[14:15], 2.0, -v[28:29]
	v_mov_b32_e32 v14, v55
	v_fma_f64 v[22:23], v[74:75], 2.0, -v[10:11]
	v_add_f64 v[46:47], v[78:79], -v[46:47]
	v_add_f64 v[44:45], v[12:13], -v[18:19]
	v_fma_f64 v[18:19], v[52:53], 2.0, -v[2:3]
	v_mad_u64_u32 v[52:53], s[0:1], s3, v48, v[14:15]
	v_add_co_u32_e32 v53, vcc, s12, v50
	v_mov_b32_e32 v55, v52
	v_fma_f64 v[14:15], v[78:79], 2.0, -v[46:47]
	v_fma_f64 v[12:13], v[12:13], 2.0, -v[44:45]
	v_addc_co_u32_e32 v56, vcc, v49, v51, vcc
	v_lshlrev_b64 v[49:50], 4, v[54:55]
	v_add_u32_e32 v54, 0x510, v48
	v_mad_u64_u32 v[51:52], s[0:1], s2, v54, 0
	v_add_co_u32_e32 v49, vcc, v53, v49
	v_addc_co_u32_e32 v50, vcc, v56, v50, vcc
	global_store_dwordx4 v[49:50], v[12:15], off
	v_fma_f64 v[16:17], v[16:17], 2.0, -v[0:1]
	v_mov_b32_e32 v12, v52
	v_mad_u64_u32 v[12:13], s[0:1], s3, v54, v[12:13]
	v_add_u32_e32 v15, 0xd8, v48
	v_mad_u64_u32 v[13:14], s[0:1], s2, v15, 0
	v_mov_b32_e32 v52, v12
	v_lshlrev_b64 v[49:50], 4, v[51:52]
	v_mov_b32_e32 v12, v14
	v_mad_u64_u32 v[14:15], s[0:1], s3, v15, v[12:13]
	v_add_co_u32_e32 v49, vcc, v53, v49
	v_addc_co_u32_e32 v50, vcc, v56, v50, vcc
	global_store_dwordx4 v[49:50], v[44:47], off
	v_lshlrev_b64 v[12:13], 4, v[13:14]
	v_add_u32_e32 v44, 0x5e8, v48
	v_mad_u64_u32 v[14:15], s[0:1], s2, v44, 0
	v_add_co_u32_e32 v12, vcc, v53, v12
	v_mad_u64_u32 v[44:45], s[0:1], s3, v44, v[15:16]
	v_addc_co_u32_e32 v13, vcc, v56, v13, vcc
	v_add_u32_e32 v47, 0x1b0, v48
	v_mov_b32_e32 v15, v44
	v_mad_u64_u32 v[45:46], s[0:1], s2, v47, 0
	global_store_dwordx4 v[12:13], v[16:19], off
	v_lshlrev_b64 v[12:13], 4, v[14:15]
	v_mov_b32_e32 v14, v46
	v_add_co_u32_e32 v12, vcc, v53, v12
	v_addc_co_u32_e32 v13, vcc, v56, v13, vcc
	global_store_dwordx4 v[12:13], v[0:3], off
	v_add_u32_e32 v12, 0x6c0, v48
	v_mad_u64_u32 v[14:15], s[0:1], s3, v47, v[14:15]
	v_mad_u64_u32 v[2:3], s[0:1], s2, v12, 0
	v_mov_b32_e32 v46, v14
	v_add_u32_e32 v15, 0x288, v48
	v_mad_u64_u32 v[12:13], s[0:1], s3, v12, v[3:4]
	v_lshlrev_b64 v[0:1], 4, v[45:46]
	v_mad_u64_u32 v[13:14], s[0:1], s2, v15, 0
	v_add_co_u32_e32 v0, vcc, v53, v0
	v_addc_co_u32_e32 v1, vcc, v56, v1, vcc
	v_mov_b32_e32 v3, v12
	global_store_dwordx4 v[0:1], v[40:43], off
	v_lshlrev_b64 v[0:1], 4, v[2:3]
	v_mov_b32_e32 v2, v14
	v_mad_u64_u32 v[2:3], s[0:1], s3, v15, v[2:3]
	v_add_co_u32_e32 v0, vcc, v53, v0
	v_addc_co_u32_e32 v1, vcc, v56, v1, vcc
	v_mov_b32_e32 v14, v2
	global_store_dwordx4 v[0:1], v[28:31], off
	v_lshlrev_b64 v[0:1], 4, v[13:14]
	v_add_u32_e32 v12, 0x798, v48
	v_add_u32_e32 v14, 0x360, v48
	v_mad_u64_u32 v[2:3], s[0:1], s2, v12, 0
	v_mul_hi_u32 v15, v14, s5
	v_add_co_u32_e32 v0, vcc, v53, v0
	v_mad_u64_u32 v[12:13], s[0:1], s3, v12, v[3:4]
	v_lshrrev_b32_e32 v3, 10, v15
	v_mad_u32_u24 v15, v3, s4, v14
	v_mad_u64_u32 v[13:14], s[0:1], s2, v15, 0
	v_addc_co_u32_e32 v1, vcc, v56, v1, vcc
	v_mov_b32_e32 v3, v12
	global_store_dwordx4 v[0:1], v[36:39], off
	v_lshlrev_b64 v[0:1], 4, v[2:3]
	v_mov_b32_e32 v2, v14
	v_mad_u64_u32 v[2:3], s[0:1], s3, v15, v[2:3]
	v_add_u32_e32 v12, 0x510, v15
	v_add_co_u32_e32 v0, vcc, v53, v0
	v_mov_b32_e32 v14, v2
	v_mad_u64_u32 v[2:3], s[0:1], s2, v12, 0
	v_addc_co_u32_e32 v1, vcc, v56, v1, vcc
	global_store_dwordx4 v[0:1], v[24:27], off
	v_lshlrev_b64 v[0:1], 4, v[13:14]
	v_mad_u64_u32 v[12:13], s[0:1], s3, v12, v[3:4]
	v_add_u32_e32 v13, 0x438, v48
	v_mul_hi_u32 v14, v13, s5
	v_add_co_u32_e32 v0, vcc, v53, v0
	v_addc_co_u32_e32 v1, vcc, v56, v1, vcc
	v_mov_b32_e32 v3, v12
	global_store_dwordx4 v[0:1], v[20:23], off
	v_lshlrev_b64 v[0:1], 4, v[2:3]
	v_lshrrev_b32_e32 v2, 10, v14
	v_mad_u32_u24 v14, v2, s4, v13
	v_mad_u64_u32 v[2:3], s[0:1], s2, v14, 0
	v_add_u32_e32 v15, 0x510, v14
	v_add_co_u32_e32 v0, vcc, v53, v0
	v_mad_u64_u32 v[12:13], s[0:1], s3, v14, v[3:4]
	v_mad_u64_u32 v[13:14], s[0:1], s2, v15, 0
	v_addc_co_u32_e32 v1, vcc, v56, v1, vcc
	v_mov_b32_e32 v3, v12
	global_store_dwordx4 v[0:1], v[8:11], off
	v_lshlrev_b64 v[0:1], 4, v[2:3]
	v_mov_b32_e32 v2, v14
	v_mad_u64_u32 v[2:3], s[0:1], s3, v15, v[2:3]
	v_add_co_u32_e32 v0, vcc, v53, v0
	v_addc_co_u32_e32 v1, vcc, v56, v1, vcc
	v_mov_b32_e32 v14, v2
	global_store_dwordx4 v[0:1], v[32:35], off
	v_lshlrev_b64 v[0:1], 4, v[13:14]
	v_add_co_u32_e32 v0, vcc, v53, v0
	v_addc_co_u32_e32 v1, vcc, v56, v1, vcc
	global_store_dwordx4 v[0:1], v[4:7], off
.LBB0_15:
	s_endpgm
	.section	.rodata,"a",@progbits
	.p2align	6, 0x0
	.amdhsa_kernel fft_rtc_back_len2592_factors_6_6_6_6_2_wgs_216_tpt_216_halfLds_dp_ip_CI_sbrr_dirReg
		.amdhsa_group_segment_fixed_size 0
		.amdhsa_private_segment_fixed_size 0
		.amdhsa_kernarg_size 88
		.amdhsa_user_sgpr_count 6
		.amdhsa_user_sgpr_private_segment_buffer 1
		.amdhsa_user_sgpr_dispatch_ptr 0
		.amdhsa_user_sgpr_queue_ptr 0
		.amdhsa_user_sgpr_kernarg_segment_ptr 1
		.amdhsa_user_sgpr_dispatch_id 0
		.amdhsa_user_sgpr_flat_scratch_init 0
		.amdhsa_user_sgpr_private_segment_size 0
		.amdhsa_uses_dynamic_stack 0
		.amdhsa_system_sgpr_private_segment_wavefront_offset 0
		.amdhsa_system_sgpr_workgroup_id_x 1
		.amdhsa_system_sgpr_workgroup_id_y 0
		.amdhsa_system_sgpr_workgroup_id_z 0
		.amdhsa_system_sgpr_workgroup_info 0
		.amdhsa_system_vgpr_workitem_id 0
		.amdhsa_next_free_vgpr 101
		.amdhsa_next_free_sgpr 24
		.amdhsa_reserve_vcc 1
		.amdhsa_reserve_flat_scratch 0
		.amdhsa_float_round_mode_32 0
		.amdhsa_float_round_mode_16_64 0
		.amdhsa_float_denorm_mode_32 3
		.amdhsa_float_denorm_mode_16_64 3
		.amdhsa_dx10_clamp 1
		.amdhsa_ieee_mode 1
		.amdhsa_fp16_overflow 0
		.amdhsa_exception_fp_ieee_invalid_op 0
		.amdhsa_exception_fp_denorm_src 0
		.amdhsa_exception_fp_ieee_div_zero 0
		.amdhsa_exception_fp_ieee_overflow 0
		.amdhsa_exception_fp_ieee_underflow 0
		.amdhsa_exception_fp_ieee_inexact 0
		.amdhsa_exception_int_div_zero 0
	.end_amdhsa_kernel
	.text
.Lfunc_end0:
	.size	fft_rtc_back_len2592_factors_6_6_6_6_2_wgs_216_tpt_216_halfLds_dp_ip_CI_sbrr_dirReg, .Lfunc_end0-fft_rtc_back_len2592_factors_6_6_6_6_2_wgs_216_tpt_216_halfLds_dp_ip_CI_sbrr_dirReg
                                        ; -- End function
	.section	.AMDGPU.csdata,"",@progbits
; Kernel info:
; codeLenInByte = 9184
; NumSgprs: 28
; NumVgprs: 101
; ScratchSize: 0
; MemoryBound: 1
; FloatMode: 240
; IeeeMode: 1
; LDSByteSize: 0 bytes/workgroup (compile time only)
; SGPRBlocks: 3
; VGPRBlocks: 25
; NumSGPRsForWavesPerEU: 28
; NumVGPRsForWavesPerEU: 101
; Occupancy: 2
; WaveLimiterHint : 1
; COMPUTE_PGM_RSRC2:SCRATCH_EN: 0
; COMPUTE_PGM_RSRC2:USER_SGPR: 6
; COMPUTE_PGM_RSRC2:TRAP_HANDLER: 0
; COMPUTE_PGM_RSRC2:TGID_X_EN: 1
; COMPUTE_PGM_RSRC2:TGID_Y_EN: 0
; COMPUTE_PGM_RSRC2:TGID_Z_EN: 0
; COMPUTE_PGM_RSRC2:TIDIG_COMP_CNT: 0
	.type	__hip_cuid_b2caadffdb5f11e6,@object ; @__hip_cuid_b2caadffdb5f11e6
	.section	.bss,"aw",@nobits
	.globl	__hip_cuid_b2caadffdb5f11e6
__hip_cuid_b2caadffdb5f11e6:
	.byte	0                               ; 0x0
	.size	__hip_cuid_b2caadffdb5f11e6, 1

	.ident	"AMD clang version 19.0.0git (https://github.com/RadeonOpenCompute/llvm-project roc-6.4.0 25133 c7fe45cf4b819c5991fe208aaa96edf142730f1d)"
	.section	".note.GNU-stack","",@progbits
	.addrsig
	.addrsig_sym __hip_cuid_b2caadffdb5f11e6
	.amdgpu_metadata
---
amdhsa.kernels:
  - .args:
      - .actual_access:  read_only
        .address_space:  global
        .offset:         0
        .size:           8
        .value_kind:     global_buffer
      - .offset:         8
        .size:           8
        .value_kind:     by_value
      - .actual_access:  read_only
        .address_space:  global
        .offset:         16
        .size:           8
        .value_kind:     global_buffer
      - .actual_access:  read_only
        .address_space:  global
        .offset:         24
        .size:           8
        .value_kind:     global_buffer
      - .offset:         32
        .size:           8
        .value_kind:     by_value
      - .actual_access:  read_only
        .address_space:  global
        .offset:         40
        .size:           8
        .value_kind:     global_buffer
      - .actual_access:  read_only
        .address_space:  global
        .offset:         48
        .size:           8
        .value_kind:     global_buffer
      - .offset:         56
        .size:           4
        .value_kind:     by_value
      - .actual_access:  read_only
        .address_space:  global
        .offset:         64
        .size:           8
        .value_kind:     global_buffer
      - .actual_access:  read_only
        .address_space:  global
        .offset:         72
        .size:           8
        .value_kind:     global_buffer
      - .address_space:  global
        .offset:         80
        .size:           8
        .value_kind:     global_buffer
    .group_segment_fixed_size: 0
    .kernarg_segment_align: 8
    .kernarg_segment_size: 88
    .language:       OpenCL C
    .language_version:
      - 2
      - 0
    .max_flat_workgroup_size: 216
    .name:           fft_rtc_back_len2592_factors_6_6_6_6_2_wgs_216_tpt_216_halfLds_dp_ip_CI_sbrr_dirReg
    .private_segment_fixed_size: 0
    .sgpr_count:     28
    .sgpr_spill_count: 0
    .symbol:         fft_rtc_back_len2592_factors_6_6_6_6_2_wgs_216_tpt_216_halfLds_dp_ip_CI_sbrr_dirReg.kd
    .uniform_work_group_size: 1
    .uses_dynamic_stack: false
    .vgpr_count:     101
    .vgpr_spill_count: 0
    .wavefront_size: 64
amdhsa.target:   amdgcn-amd-amdhsa--gfx906
amdhsa.version:
  - 1
  - 2
...

	.end_amdgpu_metadata
